;; amdgpu-corpus repo=ROCm/rocFFT kind=compiled arch=gfx1201 opt=O3
	.text
	.amdgcn_target "amdgcn-amd-amdhsa--gfx1201"
	.amdhsa_code_object_version 6
	.protected	fft_rtc_back_len104_factors_13_8_wgs_208_tpt_13_dp_op_CI_CI_sbcc_twdbase6_3step_dirReg_intrinsicReadWrite ; -- Begin function fft_rtc_back_len104_factors_13_8_wgs_208_tpt_13_dp_op_CI_CI_sbcc_twdbase6_3step_dirReg_intrinsicReadWrite
	.globl	fft_rtc_back_len104_factors_13_8_wgs_208_tpt_13_dp_op_CI_CI_sbcc_twdbase6_3step_dirReg_intrinsicReadWrite
	.p2align	8
	.type	fft_rtc_back_len104_factors_13_8_wgs_208_tpt_13_dp_op_CI_CI_sbcc_twdbase6_3step_dirReg_intrinsicReadWrite,@function
fft_rtc_back_len104_factors_13_8_wgs_208_tpt_13_dp_op_CI_CI_sbcc_twdbase6_3step_dirReg_intrinsicReadWrite: ; @fft_rtc_back_len104_factors_13_8_wgs_208_tpt_13_dp_op_CI_CI_sbcc_twdbase6_3step_dirReg_intrinsicReadWrite
; %bb.0:
	s_clause 0x1
	s_load_b256 s[4:11], s[0:1], 0x8
	s_load_b64 s[24:25], s[0:1], 0x28
	s_mov_b32 s30, ttmp9
	s_mov_b32 s2, exec_lo
	v_cmpx_gt_u32_e32 0xc0, v0
	s_cbranch_execz .LBB0_2
; %bb.1:
	v_lshlrev_b32_e32 v5, 4, v0
	s_wait_kmcnt 0x0
	global_load_b128 v[1:4], v5, s[4:5]
	v_add3_u32 v5, 0, v5, 0x6800
	s_wait_loadcnt 0x0
	ds_store_2addr_b64 v5, v[1:2], v[3:4] offset1:1
.LBB0_2:
	s_or_b32 exec_lo, exec_lo, s2
	s_wait_kmcnt 0x0
	s_load_b64 s[28:29], s[8:9], 0x8
	s_mov_b32 s31, 0
	s_mov_b64 s[4:5], 0
	s_wait_kmcnt 0x0
	s_add_nc_u64 s[2:3], s[28:29], -1
	s_delay_alu instid0(SALU_CYCLE_1) | instskip(NEXT) | instid1(SALU_CYCLE_1)
	s_lshr_b64 s[2:3], s[2:3], 4
	s_add_nc_u64 s[36:37], s[2:3], 1
	s_delay_alu instid0(SALU_CYCLE_1) | instskip(NEXT) | instid1(VALU_DEP_1)
	v_cmp_lt_u64_e64 s2, s[30:31], s[36:37]
	s_and_b32 vcc_lo, exec_lo, s2
	s_cbranch_vccnz .LBB0_4
; %bb.3:
	v_cvt_f32_u32_e32 v1, s36
	s_sub_co_i32 s3, 0, s36
	s_delay_alu instid0(VALU_DEP_1) | instskip(NEXT) | instid1(TRANS32_DEP_1)
	v_rcp_iflag_f32_e32 v1, v1
	v_mul_f32_e32 v1, 0x4f7ffffe, v1
	s_delay_alu instid0(VALU_DEP_1) | instskip(NEXT) | instid1(VALU_DEP_1)
	v_cvt_u32_f32_e32 v1, v1
	v_readfirstlane_b32 s2, v1
	s_delay_alu instid0(VALU_DEP_1) | instskip(NEXT) | instid1(SALU_CYCLE_1)
	s_mul_i32 s3, s3, s2
	s_mul_hi_u32 s3, s2, s3
	s_delay_alu instid0(SALU_CYCLE_1) | instskip(NEXT) | instid1(SALU_CYCLE_1)
	s_add_co_i32 s2, s2, s3
	s_mul_hi_u32 s2, s30, s2
	s_delay_alu instid0(SALU_CYCLE_1) | instskip(SKIP_2) | instid1(SALU_CYCLE_1)
	s_mul_i32 s3, s2, s36
	s_add_co_i32 s4, s2, 1
	s_sub_co_i32 s3, s30, s3
	s_sub_co_i32 s5, s3, s36
	s_cmp_ge_u32 s3, s36
	s_cselect_b32 s2, s4, s2
	s_cselect_b32 s3, s5, s3
	s_add_co_i32 s4, s2, 1
	s_cmp_ge_u32 s3, s36
	s_mov_b32 s5, s31
	s_cselect_b32 s4, s4, s2
.LBB0_4:
	s_load_b128 s[20:23], s[10:11], 0x0
	s_load_b128 s[16:19], s[24:25], 0x0
	s_clause 0x1
	s_load_b128 s[12:15], s[0:1], 0x60
	s_load_b64 s[26:27], s[0:1], 0x0
	v_cmp_lt_u64_e64 s2, s[6:7], 3
	s_mul_u64 s[0:1], s[4:5], s[36:37]
	s_delay_alu instid0(SALU_CYCLE_1) | instskip(NEXT) | instid1(SALU_CYCLE_1)
	s_sub_nc_u64 s[0:1], s[30:31], s[0:1]
	s_lshl_b64 s[0:1], s[0:1], 4
	s_delay_alu instid0(VALU_DEP_1)
	s_and_b32 vcc_lo, exec_lo, s2
	s_wait_kmcnt 0x0
	s_mul_u64 s[34:35], s[22:23], s[0:1]
	s_mul_u64 s[2:3], s[18:19], s[0:1]
	s_cbranch_vccnz .LBB0_14
; %bb.5:
	s_add_nc_u64 s[38:39], s[24:25], 16
	s_add_nc_u64 s[40:41], s[10:11], 16
	;; [unrolled: 1-line block ×3, first 2 shown]
	s_mov_b64 s[42:43], 2
	s_mov_b32 s44, 0
.LBB0_6:                                ; =>This Inner Loop Header: Depth=1
	s_load_b64 s[46:47], s[8:9], 0x0
                                        ; implicit-def: $sgpr50_sgpr51
	s_wait_kmcnt 0x0
	s_or_b64 s[48:49], s[4:5], s[46:47]
	s_delay_alu instid0(SALU_CYCLE_1)
	s_mov_b32 s45, s49
	s_mov_b32 s49, -1
	s_cmp_lg_u64 s[44:45], 0
	s_cbranch_scc0 .LBB0_8
; %bb.7:                                ;   in Loop: Header=BB0_6 Depth=1
	s_cvt_f32_u32 s17, s46
	s_cvt_f32_u32 s19, s47
	s_sub_nc_u64 s[52:53], 0, s[46:47]
	s_mov_b32 s49, 0
	s_mov_b32 s57, s44
	s_wait_alu 0xfffe
	s_fmamk_f32 s17, s19, 0x4f800000, s17
	s_wait_alu 0xfffe
	s_delay_alu instid0(SALU_CYCLE_2) | instskip(NEXT) | instid1(TRANS32_DEP_1)
	v_s_rcp_f32 s17, s17
	s_mul_f32 s17, s17, 0x5f7ffffc
	s_wait_alu 0xfffe
	s_delay_alu instid0(SALU_CYCLE_2) | instskip(NEXT) | instid1(SALU_CYCLE_3)
	s_mul_f32 s19, s17, 0x2f800000
	s_trunc_f32 s19, s19
	s_delay_alu instid0(SALU_CYCLE_3) | instskip(SKIP_2) | instid1(SALU_CYCLE_1)
	s_fmamk_f32 s17, s19, 0xcf800000, s17
	s_cvt_u32_f32 s51, s19
	s_wait_alu 0xfffe
	s_cvt_u32_f32 s50, s17
	s_wait_alu 0xfffe
	s_delay_alu instid0(SALU_CYCLE_2)
	s_mul_u64 s[54:55], s[52:53], s[50:51]
	s_wait_alu 0xfffe
	s_mul_hi_u32 s59, s50, s55
	s_mul_i32 s58, s50, s55
	s_mul_hi_u32 s48, s50, s54
	s_mul_i32 s19, s51, s54
	s_add_nc_u64 s[58:59], s[48:49], s[58:59]
	s_mul_hi_u32 s17, s51, s54
	s_mul_hi_u32 s21, s51, s55
	s_add_co_u32 s19, s58, s19
	s_wait_alu 0xfffe
	s_add_co_ci_u32 s56, s59, s17
	s_mul_i32 s54, s51, s55
	s_add_co_ci_u32 s55, s21, 0
	s_wait_alu 0xfffe
	s_add_nc_u64 s[54:55], s[56:57], s[54:55]
	s_wait_alu 0xfffe
	v_add_co_u32 v1, s17, s50, s54
	s_delay_alu instid0(VALU_DEP_1) | instskip(SKIP_1) | instid1(VALU_DEP_1)
	s_cmp_lg_u32 s17, 0
	s_add_co_ci_u32 s51, s51, s55
	v_readfirstlane_b32 s50, v1
	s_mov_b32 s55, s44
	s_wait_alu 0xfffe
	s_delay_alu instid0(VALU_DEP_1)
	s_mul_u64 s[52:53], s[52:53], s[50:51]
	s_wait_alu 0xfffe
	s_mul_hi_u32 s57, s50, s53
	s_mul_i32 s56, s50, s53
	s_mul_hi_u32 s48, s50, s52
	s_mul_i32 s19, s51, s52
	s_add_nc_u64 s[56:57], s[48:49], s[56:57]
	s_mul_hi_u32 s17, s51, s52
	s_mul_hi_u32 s21, s51, s53
	s_add_co_u32 s19, s56, s19
	s_wait_alu 0xfffe
	s_add_co_ci_u32 s54, s57, s17
	s_mul_i32 s52, s51, s53
	s_add_co_ci_u32 s53, s21, 0
	s_wait_alu 0xfffe
	s_add_nc_u64 s[52:53], s[54:55], s[52:53]
	s_wait_alu 0xfffe
	v_add_co_u32 v1, s17, v1, s52
	s_delay_alu instid0(VALU_DEP_1) | instskip(SKIP_1) | instid1(VALU_DEP_1)
	s_cmp_lg_u32 s17, 0
	s_add_co_ci_u32 s17, s51, s53
	v_readfirstlane_b32 s19, v1
	s_wait_alu 0xfffe
	s_mul_hi_u32 s51, s4, s17
	s_mul_i32 s50, s4, s17
	s_mul_hi_u32 s21, s5, s17
	s_mul_i32 s52, s5, s17
	;; [unrolled: 2-line block ×3, first 2 shown]
	s_wait_alu 0xfffe
	s_add_nc_u64 s[50:51], s[48:49], s[50:51]
	s_mul_hi_u32 s19, s5, s19
	s_wait_alu 0xfffe
	s_add_co_u32 s17, s50, s17
	s_add_co_ci_u32 s54, s51, s19
	s_add_co_ci_u32 s53, s21, 0
	s_wait_alu 0xfffe
	s_add_nc_u64 s[50:51], s[54:55], s[52:53]
	s_wait_alu 0xfffe
	s_mul_u64 s[52:53], s[46:47], s[50:51]
	s_add_nc_u64 s[54:55], s[50:51], 1
	s_wait_alu 0xfffe
	v_sub_co_u32 v1, s17, s4, s52
	s_sub_co_i32 s19, s5, s53
	s_cmp_lg_u32 s17, 0
	s_add_nc_u64 s[56:57], s[50:51], 2
	s_delay_alu instid0(VALU_DEP_1) | instskip(SKIP_2) | instid1(VALU_DEP_1)
	v_sub_co_u32 v2, s21, v1, s46
	s_sub_co_ci_u32 s19, s19, s47
	s_cmp_lg_u32 s21, 0
	v_readfirstlane_b32 s21, v2
	s_sub_co_ci_u32 s19, s19, 0
	s_delay_alu instid0(SALU_CYCLE_1) | instskip(SKIP_1) | instid1(VALU_DEP_1)
	s_cmp_ge_u32 s19, s47
	s_cselect_b32 s33, -1, 0
	s_cmp_ge_u32 s21, s46
	s_cselect_b32 s21, -1, 0
	s_cmp_eq_u32 s19, s47
	s_cselect_b32 s19, s21, s33
	s_delay_alu instid0(SALU_CYCLE_1)
	s_cmp_lg_u32 s19, 0
	s_cselect_b32 s19, s56, s54
	s_cselect_b32 s21, s57, s55
	s_cmp_lg_u32 s17, 0
	v_readfirstlane_b32 s17, v1
	s_sub_co_ci_u32 s33, s5, s53
	s_delay_alu instid0(SALU_CYCLE_1) | instskip(SKIP_1) | instid1(VALU_DEP_1)
	s_cmp_ge_u32 s33, s47
	s_cselect_b32 s45, -1, 0
	s_cmp_ge_u32 s17, s46
	s_cselect_b32 s17, -1, 0
	s_cmp_eq_u32 s33, s47
	s_wait_alu 0xfffe
	s_cselect_b32 s17, s17, s45
	s_wait_alu 0xfffe
	s_cmp_lg_u32 s17, 0
	s_cselect_b32 s51, s21, s51
	s_cselect_b32 s50, s19, s50
.LBB0_8:                                ;   in Loop: Header=BB0_6 Depth=1
	s_and_not1_b32 vcc_lo, exec_lo, s49
	s_cbranch_vccnz .LBB0_10
; %bb.9:                                ;   in Loop: Header=BB0_6 Depth=1
	v_cvt_f32_u32_e32 v1, s46
	s_sub_co_i32 s19, 0, s46
	s_mov_b32 s51, s44
	s_delay_alu instid0(VALU_DEP_1) | instskip(NEXT) | instid1(TRANS32_DEP_1)
	v_rcp_iflag_f32_e32 v1, v1
	v_mul_f32_e32 v1, 0x4f7ffffe, v1
	s_delay_alu instid0(VALU_DEP_1) | instskip(NEXT) | instid1(VALU_DEP_1)
	v_cvt_u32_f32_e32 v1, v1
	v_readfirstlane_b32 s17, v1
	s_delay_alu instid0(VALU_DEP_1) | instskip(NEXT) | instid1(SALU_CYCLE_1)
	s_mul_i32 s19, s19, s17
	s_mul_hi_u32 s19, s17, s19
	s_delay_alu instid0(SALU_CYCLE_1)
	s_add_co_i32 s17, s17, s19
	s_wait_alu 0xfffe
	s_mul_hi_u32 s17, s4, s17
	s_wait_alu 0xfffe
	s_mul_i32 s19, s17, s46
	s_add_co_i32 s21, s17, 1
	s_sub_co_i32 s19, s4, s19
	s_delay_alu instid0(SALU_CYCLE_1)
	s_sub_co_i32 s33, s19, s46
	s_cmp_ge_u32 s19, s46
	s_cselect_b32 s17, s21, s17
	s_cselect_b32 s19, s33, s19
	s_wait_alu 0xfffe
	s_add_co_i32 s21, s17, 1
	s_cmp_ge_u32 s19, s46
	s_cselect_b32 s50, s21, s17
.LBB0_10:                               ;   in Loop: Header=BB0_6 Depth=1
	s_load_b64 s[48:49], s[40:41], 0x0
	s_load_b64 s[52:53], s[38:39], 0x0
	s_add_nc_u64 s[42:43], s[42:43], 1
	s_mul_u64 s[36:37], s[46:47], s[36:37]
	s_wait_alu 0xfffe
	v_cmp_ge_u64_e64 s17, s[42:43], s[6:7]
	s_mul_u64 s[46:47], s[50:51], s[46:47]
	s_add_nc_u64 s[38:39], s[38:39], 8
	s_wait_alu 0xfffe
	s_sub_nc_u64 s[4:5], s[4:5], s[46:47]
	s_add_nc_u64 s[40:41], s[40:41], 8
	s_add_nc_u64 s[8:9], s[8:9], 8
	s_and_b32 vcc_lo, exec_lo, s17
	s_wait_kmcnt 0x0
	s_wait_alu 0xfffe
	s_mul_u64 s[46:47], s[48:49], s[4:5]
	s_mul_u64 s[4:5], s[52:53], s[4:5]
	s_wait_alu 0xfffe
	s_add_nc_u64 s[34:35], s[46:47], s[34:35]
	s_add_nc_u64 s[2:3], s[4:5], s[2:3]
	s_cbranch_vccnz .LBB0_12
; %bb.11:                               ;   in Loop: Header=BB0_6 Depth=1
	s_mov_b64 s[4:5], s[50:51]
	s_branch .LBB0_6
.LBB0_12:
	v_cmp_lt_u64_e64 s3, s[30:31], s[36:37]
	s_mov_b64 s[4:5], 0
	s_delay_alu instid0(VALU_DEP_1)
	s_and_b32 vcc_lo, exec_lo, s3
	s_cbranch_vccnz .LBB0_14
; %bb.13:
	v_cvt_f32_u32_e32 v1, s36
	s_sub_co_i32 s4, 0, s36
	s_delay_alu instid0(VALU_DEP_1) | instskip(NEXT) | instid1(TRANS32_DEP_1)
	v_rcp_iflag_f32_e32 v1, v1
	v_mul_f32_e32 v1, 0x4f7ffffe, v1
	s_delay_alu instid0(VALU_DEP_1) | instskip(NEXT) | instid1(VALU_DEP_1)
	v_cvt_u32_f32_e32 v1, v1
	v_readfirstlane_b32 s3, v1
	s_wait_alu 0xfffe
	s_delay_alu instid0(VALU_DEP_1) | instskip(SKIP_4) | instid1(SALU_CYCLE_1)
	s_mul_i32 s4, s4, s3
	s_wait_alu 0xfffe
	s_mul_hi_u32 s4, s3, s4
	s_wait_alu 0xfffe
	s_add_co_i32 s3, s3, s4
	s_mul_hi_u32 s3, s30, s3
	s_delay_alu instid0(SALU_CYCLE_1)
	s_mul_i32 s4, s3, s36
	s_add_co_i32 s5, s3, 1
	s_wait_alu 0xfffe
	s_sub_co_i32 s4, s30, s4
	s_wait_alu 0xfffe
	s_sub_co_i32 s8, s4, s36
	s_cmp_ge_u32 s4, s36
	s_cselect_b32 s3, s5, s3
	s_cselect_b32 s4, s8, s4
	s_add_co_i32 s8, s3, 1
	s_wait_alu 0xfffe
	s_cmp_ge_u32 s4, s36
	s_mov_b32 s5, 0
	s_cselect_b32 s4, s8, s3
.LBB0_14:
	v_dual_mov_b32 v47, 0 :: v_dual_and_b32 v80, 15, v0
	v_cmp_gt_u32_e32 vcc_lo, 0x80, v0
	s_lshl_b64 s[6:7], s[6:7], 3
	v_dual_mov_b32 v48, 0 :: v_dual_mov_b32 v5, 0
	s_delay_alu instid0(VALU_DEP_3)
	v_or_b32_e32 v61, s0, v80
	v_mad_co_u64_u32 v[53:54], null, s22, v80, 0
	v_mov_b32_e32 v62, s1
	s_wait_alu 0xfffe
	s_add_nc_u64 s[8:9], s[10:11], s[6:7]
	v_cndmask_b32_e64 v1, 0, 1, vcc_lo
	s_add_nc_u64 s[10:11], s[0:1], 16
	s_load_b64 s[8:9], s[8:9], 0x0
	v_cmp_gt_u64_e32 vcc_lo, s[28:29], v[61:62]
	v_cmp_le_u64_e64 s3, s[10:11], s[28:29]
	v_cmp_lt_u32_e64 s0, 0x7f, v0
	v_lshrrev_b32_e32 v72, 4, v0
	v_dual_mov_b32 v3, v47 :: v_dual_mov_b32 v4, v48
	s_wait_alu 0xfffd
	v_cndmask_b32_e64 v2, 0, 1, vcc_lo
	s_or_b32 s0, s0, s3
	s_wait_alu 0xfffe
	s_delay_alu instid0(VALU_DEP_1) | instskip(NEXT) | instid1(VALU_DEP_1)
	v_cndmask_b32_e64 v2, v2, v1, s0
	v_dual_mov_b32 v1, v54 :: v_dual_and_b32 v6, 1, v2
	s_delay_alu instid0(VALU_DEP_1) | instskip(SKIP_1) | instid1(VALU_DEP_3)
	v_mad_co_u64_u32 v[1:2], null, s23, v80, v[1:2]
	v_dual_mov_b32 v1, v47 :: v_dual_mov_b32 v2, v48
	v_cmp_eq_u32_e64 s0, 1, v6
	s_wait_kmcnt 0x0
	s_mul_u64 s[8:9], s[8:9], s[4:5]
	s_delay_alu instid0(SALU_CYCLE_1) | instskip(NEXT) | instid1(VALU_DEP_1)
	s_add_nc_u64 s[8:9], s[8:9], s[34:35]
	s_and_saveexec_b32 s5, s0
	s_cbranch_execz .LBB0_16
; %bb.15:
	v_mul_lo_u32 v1, s20, v72
	s_delay_alu instid0(VALU_DEP_1) | instskip(NEXT) | instid1(VALU_DEP_1)
	v_add3_u32 v4, s8, v53, v1
	v_lshlrev_b64_e32 v[1:2], 4, v[4:5]
	s_delay_alu instid0(VALU_DEP_1) | instskip(SKIP_1) | instid1(VALU_DEP_2)
	v_add_co_u32 v1, s1, s12, v1
	s_wait_alu 0xf1ff
	v_add_co_ci_u32_e64 v2, s1, s13, v2, s1
	global_load_b128 v[1:4], v[1:2], off
.LBB0_16:
	s_wait_alu 0xfffe
	s_or_b32 exec_lo, exec_lo, s5
	v_dual_mov_b32 v45, v47 :: v_dual_mov_b32 v46, v48
	s_and_saveexec_b32 s5, s0
	s_cbranch_execz .LBB0_18
; %bb.17:
	v_dual_mov_b32 v6, 0 :: v_dual_add_nc_u32 v5, 8, v72
	s_delay_alu instid0(VALU_DEP_1) | instskip(NEXT) | instid1(VALU_DEP_1)
	v_mul_lo_u32 v5, s20, v5
	v_add3_u32 v5, s8, v53, v5
	s_delay_alu instid0(VALU_DEP_1) | instskip(NEXT) | instid1(VALU_DEP_1)
	v_lshlrev_b64_e32 v[5:6], 4, v[5:6]
	v_add_co_u32 v5, s1, s12, v5
	s_wait_alu 0xf1ff
	s_delay_alu instid0(VALU_DEP_2)
	v_add_co_ci_u32_e64 v6, s1, s13, v6, s1
	global_load_b128 v[45:48], v[5:6], off
.LBB0_18:
	s_wait_alu 0xfffe
	s_or_b32 exec_lo, exec_lo, s5
	v_mov_b32_e32 v51, 0
	v_mov_b32_e32 v52, 0
	s_delay_alu instid0(VALU_DEP_2) | instskip(NEXT) | instid1(VALU_DEP_2)
	v_mov_b32_e32 v39, v51
	v_dual_mov_b32 v37, v51 :: v_dual_mov_b32 v38, v52
	v_mov_b32_e32 v40, v52
	s_and_saveexec_b32 s5, s0
	s_cbranch_execz .LBB0_20
; %bb.19:
	v_or_b32_e32 v5, 16, v72
	v_mov_b32_e32 v6, 0
	s_delay_alu instid0(VALU_DEP_2) | instskip(NEXT) | instid1(VALU_DEP_1)
	v_mul_lo_u32 v5, s20, v5
	v_add3_u32 v5, s8, v53, v5
	s_delay_alu instid0(VALU_DEP_1) | instskip(NEXT) | instid1(VALU_DEP_1)
	v_lshlrev_b64_e32 v[5:6], 4, v[5:6]
	v_add_co_u32 v5, s1, s12, v5
	s_wait_alu 0xf1ff
	s_delay_alu instid0(VALU_DEP_2)
	v_add_co_ci_u32_e64 v6, s1, s13, v6, s1
	global_load_b128 v[37:40], v[5:6], off
.LBB0_20:
	s_wait_alu 0xfffe
	s_or_b32 exec_lo, exec_lo, s5
	v_dual_mov_b32 v49, v51 :: v_dual_mov_b32 v50, v52
	s_and_saveexec_b32 s5, s0
	s_cbranch_execz .LBB0_22
; %bb.21:
	v_dual_mov_b32 v6, 0 :: v_dual_add_nc_u32 v5, 24, v72
	s_delay_alu instid0(VALU_DEP_1) | instskip(NEXT) | instid1(VALU_DEP_1)
	v_mul_lo_u32 v5, s20, v5
	v_add3_u32 v5, s8, v53, v5
	s_delay_alu instid0(VALU_DEP_1) | instskip(NEXT) | instid1(VALU_DEP_1)
	v_lshlrev_b64_e32 v[5:6], 4, v[5:6]
	v_add_co_u32 v5, s1, s12, v5
	s_wait_alu 0xf1ff
	s_delay_alu instid0(VALU_DEP_2)
	v_add_co_ci_u32_e64 v6, s1, s13, v6, s1
	global_load_b128 v[49:52], v[5:6], off
.LBB0_22:
	s_wait_alu 0xfffe
	s_or_b32 exec_lo, exec_lo, s5
	v_mov_b32_e32 v31, 0
	v_mov_b32_e32 v32, 0
	s_delay_alu instid0(VALU_DEP_1)
	v_dual_mov_b32 v44, v32 :: v_dual_mov_b32 v43, v31
	v_dual_mov_b32 v42, v32 :: v_dual_mov_b32 v41, v31
	s_and_saveexec_b32 s5, s0
	s_cbranch_execz .LBB0_24
; %bb.23:
	v_or_b32_e32 v5, 32, v72
	v_mov_b32_e32 v6, 0
	s_delay_alu instid0(VALU_DEP_2) | instskip(NEXT) | instid1(VALU_DEP_1)
	v_mul_lo_u32 v5, s20, v5
	v_add3_u32 v5, s8, v53, v5
	s_delay_alu instid0(VALU_DEP_1) | instskip(NEXT) | instid1(VALU_DEP_1)
	v_lshlrev_b64_e32 v[5:6], 4, v[5:6]
	v_add_co_u32 v5, s1, s12, v5
	s_wait_alu 0xf1ff
	s_delay_alu instid0(VALU_DEP_2)
	v_add_co_ci_u32_e64 v6, s1, s13, v6, s1
	global_load_b128 v[41:44], v[5:6], off
.LBB0_24:
	s_wait_alu 0xfffe
	s_or_b32 exec_lo, exec_lo, s5
	v_dual_mov_b32 v29, v31 :: v_dual_mov_b32 v30, v32
	s_and_saveexec_b32 s5, s0
	s_cbranch_execz .LBB0_26
; %bb.25:
	v_dual_mov_b32 v6, 0 :: v_dual_add_nc_u32 v5, 40, v72
	s_delay_alu instid0(VALU_DEP_1) | instskip(NEXT) | instid1(VALU_DEP_1)
	v_mul_lo_u32 v5, s20, v5
	v_add3_u32 v5, s8, v53, v5
	s_delay_alu instid0(VALU_DEP_1) | instskip(NEXT) | instid1(VALU_DEP_1)
	v_lshlrev_b64_e32 v[5:6], 4, v[5:6]
	v_add_co_u32 v5, s1, s12, v5
	s_wait_alu 0xf1ff
	s_delay_alu instid0(VALU_DEP_2)
	v_add_co_ci_u32_e64 v6, s1, s13, v6, s1
	global_load_b128 v[29:32], v[5:6], off
.LBB0_26:
	s_wait_alu 0xfffe
	s_or_b32 exec_lo, exec_lo, s5
	v_mov_b32_e32 v27, 0
	v_mov_b32_e32 v28, 0
	s_delay_alu instid0(VALU_DEP_1)
	v_dual_mov_b32 v36, v28 :: v_dual_mov_b32 v35, v27
	v_dual_mov_b32 v34, v28 :: v_dual_mov_b32 v33, v27
	;; [unrolled: 41-line block ×4, first 2 shown]
	s_and_saveexec_b32 s5, s0
	s_cbranch_execz .LBB0_36
; %bb.35:
	v_or_b32_e32 v5, 0x50, v72
	v_mov_b32_e32 v6, 0
	s_delay_alu instid0(VALU_DEP_2) | instskip(NEXT) | instid1(VALU_DEP_1)
	v_mul_lo_u32 v5, s20, v5
	v_add3_u32 v5, s8, v53, v5
	s_delay_alu instid0(VALU_DEP_1) | instskip(NEXT) | instid1(VALU_DEP_1)
	v_lshlrev_b64_e32 v[5:6], 4, v[5:6]
	v_add_co_u32 v5, s1, s12, v5
	s_wait_alu 0xf1ff
	s_delay_alu instid0(VALU_DEP_2)
	v_add_co_ci_u32_e64 v6, s1, s13, v6, s1
	global_load_b128 v[17:20], v[5:6], off
.LBB0_36:
	s_wait_alu 0xfffe
	s_or_b32 exec_lo, exec_lo, s5
	v_dual_mov_b32 v5, v7 :: v_dual_mov_b32 v6, v8
	s_and_saveexec_b32 s5, s0
	s_cbranch_execz .LBB0_38
; %bb.37:
	v_dual_mov_b32 v6, 0 :: v_dual_add_nc_u32 v5, 0x58, v72
	s_delay_alu instid0(VALU_DEP_1) | instskip(NEXT) | instid1(VALU_DEP_1)
	v_mul_lo_u32 v5, s20, v5
	v_add3_u32 v5, s8, v53, v5
	s_delay_alu instid0(VALU_DEP_1) | instskip(NEXT) | instid1(VALU_DEP_1)
	v_lshlrev_b64_e32 v[5:6], 4, v[5:6]
	v_add_co_u32 v5, s1, s12, v5
	s_wait_alu 0xf1ff
	s_delay_alu instid0(VALU_DEP_2)
	v_add_co_ci_u32_e64 v6, s1, s13, v6, s1
	global_load_b128 v[5:8], v[5:6], off
.LBB0_38:
	s_wait_alu 0xfffe
	s_or_b32 exec_lo, exec_lo, s5
	v_mov_b32_e32 v11, 0
	v_mov_b32_e32 v12, 0
	s_delay_alu instid0(VALU_DEP_1)
	v_dual_mov_b32 v9, v11 :: v_dual_mov_b32 v10, v12
	s_and_saveexec_b32 s1, s0
	s_cbranch_execz .LBB0_40
; %bb.39:
	v_or_b32_e32 v9, 0x60, v72
	v_mov_b32_e32 v10, 0
	s_delay_alu instid0(VALU_DEP_2) | instskip(NEXT) | instid1(VALU_DEP_1)
	v_mul_lo_u32 v9, s20, v9
	v_add3_u32 v9, s8, v53, v9
	s_delay_alu instid0(VALU_DEP_1) | instskip(NEXT) | instid1(VALU_DEP_1)
	v_lshlrev_b64_e32 v[9:10], 4, v[9:10]
	v_add_co_u32 v9, s0, s12, v9
	s_wait_alu 0xf1ff
	s_delay_alu instid0(VALU_DEP_2)
	v_add_co_ci_u32_e64 v10, s0, s13, v10, s0
	global_load_b128 v[9:12], v[9:10], off
.LBB0_40:
	s_wait_alu 0xfffe
	s_or_b32 exec_lo, exec_lo, s1
	s_delay_alu instid0(SALU_CYCLE_1)
	s_mov_b32 s5, exec_lo
	v_cmpx_gt_u32_e32 0x80, v0
	s_cbranch_execz .LBB0_42
; %bb.41:
	s_wait_loadcnt 0x0
	v_add_f64_e32 v[53:54], v[3:4], v[47:48]
	v_add_f64_e32 v[55:56], v[1:2], v[45:46]
	v_add_f64_e64 v[73:74], v[45:46], -v[9:10]
	v_add_f64_e32 v[75:76], v[45:46], v[9:10]
	s_mov_b32 s12, 0x24c2f84
	s_mov_b32 s0, 0x4bc48dbf
	s_mov_b32 s38, 0xd0032e0c
	s_mov_b32 s13, 0xbfe5384d
	s_mov_b32 s1, 0xbfcea1e5
	s_mov_b32 s39, 0xbfe7f3cc
	v_add_f64_e32 v[70:71], v[47:48], v[11:12]
	v_add_f64_e64 v[83:84], v[41:42], -v[13:14]
	v_add_f64_e64 v[85:86], v[47:48], -v[11:12]
	;; [unrolled: 1-line block ×3, first 2 shown]
	v_add_f64_e32 v[64:65], v[43:44], v[15:16]
	v_add_f64_e32 v[89:90], v[41:42], v[13:14]
	v_add_f64_e64 v[62:63], v[43:44], -v[15:16]
	v_add_f64_e64 v[93:94], v[37:38], -v[5:6]
	s_mov_b32 s36, 0x66966769
	s_mov_b32 s30, 0x2ef20147
	s_mov_b32 s8, 0x42a4c3d2
	s_mov_b32 s20, 0x4267c47c
	s_mov_b32 s46, 0xebaa3ed8
	s_mov_b32 s44, 0xb2365da1
	s_mov_b32 s40, 0x1ea71119
	s_mov_b32 s34, 0xe00740e9
	s_mov_b32 s28, 0x93053d00
	s_mov_b32 s37, 0x3fefc445
	s_mov_b32 s31, 0xbfedeba7
	s_mov_b32 s9, 0x3fea55e2
	s_mov_b32 s21, 0x3fddbe06
	s_mov_b32 s43, 0xbfefc445
	s_mov_b32 s23, 0xbfea55e2
	s_mov_b32 s11, 0xbfddbe06
	s_mov_b32 s47, 0x3fbedb7d
	s_mov_b32 s45, 0xbfd6b1d8
	s_mov_b32 s41, 0x3fe22d96
	s_mov_b32 s35, 0x3fec55a7
	v_add_f64_e32 v[77:78], v[53:54], v[39:40]
	v_add_f64_e32 v[81:82], v[55:56], v[37:38]
	;; [unrolled: 1-line block ×3, first 2 shown]
	s_wait_alu 0xfffe
	v_mul_f64_e32 v[97:98], s[0:1], v[73:74]
	v_mul_f64_e32 v[101:102], s[12:13], v[73:74]
	;; [unrolled: 1-line block ×3, first 2 shown]
	s_mov_b32 s29, 0xbfef11f4
	s_mov_b32 s53, 0x3fedeba7
	;; [unrolled: 1-line block ×8, first 2 shown]
	v_add_f64_e64 v[68:69], v[29:30], -v[21:22]
	v_add_f64_e32 v[59:60], v[31:32], v[23:24]
	v_add_f64_e32 v[66:67], v[29:30], v[21:22]
	v_add_f64_e64 v[47:48], v[31:32], -v[23:24]
	v_add_f64_e32 v[91:92], v[51:52], v[19:20]
	v_add_f64_e32 v[95:96], v[39:40], v[7:8]
	v_add_f64_e64 v[39:40], v[39:40], -v[7:8]
	s_wait_alu 0xfffe
	v_mul_f64_e32 v[99:100], s[28:29], v[75:76]
	v_mul_f64_e32 v[105:106], s[30:31], v[73:74]
	;; [unrolled: 1-line block ×14, first 2 shown]
	s_mov_b32 s49, 0x3fcea1e5
	s_mov_b32 s48, s0
	v_mul_f64_e32 v[137:138], s[50:51], v[93:94]
	v_add_f64_e32 v[77:78], v[77:78], v[51:52]
	v_add_f64_e32 v[81:82], v[81:82], v[49:50]
	;; [unrolled: 1-line block ×3, first 2 shown]
	v_mul_f64_e32 v[145:146], s[46:47], v[37:38]
	v_fma_f64 v[179:180], v[70:71], s[28:29], v[97:98]
	v_fma_f64 v[97:98], v[70:71], s[28:29], -v[97:98]
	v_fma_f64 v[183:184], v[70:71], s[38:39], v[101:102]
	v_fma_f64 v[185:186], v[85:86], s[50:51], v[103:104]
	v_fma_f64 v[101:102], v[70:71], s[38:39], -v[101:102]
	v_add_f64_e64 v[51:52], v[51:52], -v[19:20]
	v_mul_f64_e32 v[139:140], s[0:1], v[93:94]
	v_mul_f64_e32 v[141:142], s[30:31], v[93:94]
	;; [unrolled: 1-line block ×6, first 2 shown]
	v_fma_f64 v[103:104], v[85:86], s[12:13], v[103:104]
	v_mul_f64_e32 v[37:38], s[40:41], v[37:38]
	v_add_f64_e64 v[53:54], v[33:34], -v[25:26]
	v_add_f64_e32 v[45:46], v[35:36], v[27:28]
	v_add_f64_e32 v[57:58], v[33:34], v[25:26]
	v_fma_f64 v[181:182], v[85:86], s[48:49], v[99:100]
	v_fma_f64 v[99:100], v[85:86], s[0:1], v[99:100]
	v_add_f64_e64 v[55:56], v[35:36], -v[27:28]
	v_fma_f64 v[187:188], v[70:71], s[46:47], v[109:110]
	v_fma_f64 v[189:190], v[85:86], s[36:37], v[111:112]
	v_fma_f64 v[109:110], v[70:71], s[46:47], -v[109:110]
	v_fma_f64 v[111:112], v[85:86], s[42:43], v[111:112]
	v_fma_f64 v[191:192], v[70:71], s[40:41], v[113:114]
	;; [unrolled: 1-line block ×3, first 2 shown]
	v_fma_f64 v[113:114], v[70:71], s[40:41], -v[113:114]
	v_fma_f64 v[115:116], v[85:86], s[22:23], v[115:116]
	v_fma_f64 v[195:196], v[70:71], s[34:35], v[73:74]
	;; [unrolled: 1-line block ×4, first 2 shown]
	v_fma_f64 v[131:132], v[91:92], s[34:35], -v[131:132]
	v_fma_f64 v[201:202], v[91:92], s[44:45], v[133:134]
	v_fma_f64 v[133:134], v[91:92], s[44:45], -v[133:134]
	v_add_f64_e32 v[43:44], v[77:78], v[43:44]
	v_add_f64_e32 v[41:42], v[81:82], v[41:42]
	v_mul_f64_e32 v[77:78], s[42:43], v[87:88]
	v_mul_f64_e32 v[81:82], s[20:21], v[93:94]
	;; [unrolled: 1-line block ×5, first 2 shown]
	v_fma_f64 v[203:204], v[91:92], s[28:29], v[135:136]
	v_fma_f64 v[135:136], v[91:92], s[28:29], -v[135:136]
	v_fma_f64 v[213:214], v[39:40], s[42:43], v[145:146]
	v_add_f64_e32 v[97:98], v[3:4], v[97:98]
	v_add_f64_e32 v[183:184], v[3:4], v[183:184]
	;; [unrolled: 1-line block ×4, first 2 shown]
	v_mul_f64_e32 v[117:118], s[8:9], v[83:84]
	v_mul_f64_e32 v[119:120], s[48:49], v[83:84]
	;; [unrolled: 1-line block ×7, first 2 shown]
	v_fma_f64 v[209:210], v[95:96], s[38:39], v[137:138]
	v_fma_f64 v[137:138], v[95:96], s[38:39], -v[137:138]
	v_fma_f64 v[211:212], v[95:96], s[28:29], v[139:140]
	v_fma_f64 v[139:140], v[95:96], s[28:29], -v[139:140]
	v_add_f64_e32 v[179:180], v[3:4], v[179:180]
	v_fma_f64 v[145:146], v[39:40], s[36:37], v[145:146]
	v_add_f64_e32 v[181:182], v[1:2], v[181:182]
	v_add_f64_e32 v[99:100], v[1:2], v[99:100]
	;; [unrolled: 1-line block ×13, first 2 shown]
	v_fma_f64 v[41:42], v[70:71], s[44:45], v[105:106]
	v_fma_f64 v[43:44], v[85:86], s[52:53], v[107:108]
	v_fma_f64 v[105:106], v[70:71], s[44:45], -v[105:106]
	v_fma_f64 v[107:108], v[85:86], s[30:31], v[107:108]
	v_fma_f64 v[70:71], v[70:71], s[34:35], -v[73:74]
	v_fma_f64 v[73:74], v[85:86], s[10:11], v[75:76]
	v_fma_f64 v[75:76], v[91:92], s[38:39], v[127:128]
	v_fma_f64 v[85:86], v[91:92], s[38:39], -v[127:128]
	v_fma_f64 v[127:128], v[91:92], s[40:41], v[129:130]
	v_fma_f64 v[129:130], v[91:92], s[40:41], -v[129:130]
	;; [unrolled: 2-line block ×5, first 2 shown]
	v_add_f64_e32 v[195:196], v[3:4], v[195:196]
	v_add_f64_e32 v[197:198], v[1:2], v[197:198]
	;; [unrolled: 1-line block ×3, first 2 shown]
	v_mul_f64_e32 v[49:50], s[46:47], v[49:50]
	v_mul_f64_e32 v[121:122], s[42:43], v[83:84]
	;; [unrolled: 1-line block ×9, first 2 shown]
	v_add_f64_e32 v[103:104], v[145:146], v[103:104]
	v_add_f64_e32 v[187:188], v[211:212], v[187:188]
	;; [unrolled: 1-line block ×3, first 2 shown]
	v_fma_f64 v[139:140], v[64:65], s[28:29], v[119:120]
	v_fma_f64 v[119:120], v[64:65], s[28:29], -v[119:120]
	v_fma_f64 v[213:214], v[51:52], s[48:49], v[161:162]
	v_mul_f64_e32 v[163:164], s[40:41], v[89:90]
	v_mul_f64_e32 v[89:90], s[44:45], v[89:90]
	v_add_f64_e32 v[31:32], v[31:32], v[35:36]
	v_add_f64_e32 v[29:30], v[29:30], v[33:34]
	v_fma_f64 v[33:34], v[95:96], s[44:45], v[141:142]
	v_fma_f64 v[35:36], v[95:96], s[44:45], -v[141:142]
	v_fma_f64 v[141:142], v[39:40], s[10:11], v[143:144]
	v_fma_f64 v[143:144], v[39:40], s[20:21], v[143:144]
	v_add_f64_e32 v[41:42], v[3:4], v[41:42]
	v_add_f64_e32 v[43:44], v[1:2], v[43:44]
	;; [unrolled: 1-line block ×6, first 2 shown]
	v_fma_f64 v[70:71], v[39:40], s[12:13], v[147:148]
	v_fma_f64 v[73:74], v[95:96], s[40:41], v[93:94]
	v_fma_f64 v[93:94], v[95:96], s[40:41], -v[93:94]
	v_fma_f64 v[95:96], v[39:40], s[50:51], v[147:148]
	v_fma_f64 v[147:148], v[39:40], s[48:49], v[149:150]
	v_fma_f64 v[149:150], v[39:40], s[0:1], v[149:150]
	v_add_f64_e32 v[81:82], v[81:82], v[97:98]
	v_fma_f64 v[97:98], v[51:52], s[8:9], v[155:156]
	v_add_f64_e32 v[183:184], v[207:208], v[183:184]
	v_add_f64_e32 v[87:88], v[87:88], v[101:102]
	v_add_f64_e32 v[91:92], v[91:92], v[179:180]
	v_fma_f64 v[155:156], v[51:52], s[22:23], v[155:156]
	v_fma_f64 v[207:208], v[51:52], s[30:31], v[159:160]
	;; [unrolled: 1-line block ×6, first 2 shown]
	v_mul_f64_e32 v[173:174], s[30:31], v[68:69]
	v_mul_f64_e32 v[145:146], s[28:29], v[66:67]
	;; [unrolled: 1-line block ×3, first 2 shown]
	v_add_f64_e32 v[109:110], v[133:134], v[109:110]
	v_mul_f64_e32 v[179:180], s[36:37], v[53:54]
	v_mul_f64_e32 v[211:212], s[46:47], v[57:58]
	v_fma_f64 v[133:134], v[62:63], s[52:53], v[89:90]
	v_add_f64_e32 v[27:28], v[31:32], v[27:28]
	v_add_f64_e32 v[25:26], v[29:30], v[25:26]
	v_fma_f64 v[31:32], v[39:40], s[30:31], v[151:152]
	v_fma_f64 v[29:30], v[39:40], s[52:53], v[151:152]
	;; [unrolled: 1-line block ×4, first 2 shown]
	v_mul_f64_e32 v[39:40], s[34:35], v[66:67]
	v_add_f64_e32 v[141:142], v[141:142], v[181:182]
	v_fma_f64 v[181:182], v[51:52], s[50:51], v[153:154]
	v_add_f64_e32 v[99:100], v[143:144], v[99:100]
	v_fma_f64 v[143:144], v[51:52], s[10:11], v[157:158]
	v_fma_f64 v[157:158], v[51:52], s[20:21], v[157:158]
	v_add_f64_e32 v[41:42], v[209:210], v[41:42]
	v_add_f64_e32 v[43:44], v[70:71], v[43:44]
	;; [unrolled: 1-line block ×5, first 2 shown]
	v_fma_f64 v[189:190], v[64:65], s[40:41], v[117:118]
	v_fma_f64 v[117:118], v[64:65], s[40:41], -v[117:118]
	v_add_f64_e32 v[81:82], v[85:86], v[81:82]
	v_add_f64_e32 v[127:128], v[127:128], v[183:184]
	v_fma_f64 v[183:184], v[62:63], s[0:1], v[165:166]
	v_add_f64_e32 v[97:98], v[97:98], v[185:186]
	v_add_f64_e32 v[87:88], v[129:130], v[87:88]
	;; [unrolled: 1-line block ×4, first 2 shown]
	v_fma_f64 v[153:154], v[51:52], s[12:13], v[153:154]
	v_add_f64_e32 v[3:4], v[93:94], v[3:4]
	v_mul_f64_e32 v[51:52], s[48:49], v[68:69]
	v_mul_f64_e32 v[209:210], s[22:23], v[68:69]
	;; [unrolled: 1-line block ×6, first 2 shown]
	v_add_f64_e32 v[75:76], v[75:76], v[91:92]
	v_fma_f64 v[91:92], v[64:65], s[46:47], v[121:122]
	v_fma_f64 v[121:122], v[64:65], s[46:47], -v[121:122]
	v_fma_f64 v[85:86], v[64:65], s[38:39], v[125:126]
	v_add_f64_e32 v[23:24], v[27:28], v[23:24]
	v_add_f64_e32 v[21:22], v[25:26], v[21:22]
	;; [unrolled: 1-line block ×9, first 2 shown]
	v_fma_f64 v[181:182], v[64:65], s[34:35], v[123:124]
	v_fma_f64 v[123:124], v[64:65], s[34:35], -v[123:124]
	v_fma_f64 v[33:34], v[62:63], s[48:49], v[165:166]
	v_fma_f64 v[111:112], v[62:63], s[36:37], v[167:168]
	;; [unrolled: 1-line block ×6, first 2 shown]
	v_fma_f64 v[115:116], v[59:60], s[34:35], -v[177:178]
	v_add_f64_e32 v[37:38], v[155:156], v[103:104]
	v_add_f64_e32 v[41:42], v[199:200], v[41:42]
	;; [unrolled: 1-line block ×11, first 2 shown]
	v_fma_f64 v[119:120], v[64:65], s[38:39], -v[125:126]
	v_fma_f64 v[125:126], v[64:65], s[44:45], v[83:84]
	v_fma_f64 v[127:128], v[62:63], s[50:51], v[171:172]
	v_add_f64_e32 v[35:36], v[135:136], v[35:36]
	v_add_f64_e32 v[73:74], v[205:206], v[73:74]
	v_fma_f64 v[185:186], v[59:60], s[34:35], v[177:178]
	v_fma_f64 v[64:65], v[64:65], s[44:45], -v[83:84]
	v_fma_f64 v[83:84], v[62:63], s[12:13], v[171:172]
	v_add_f64_e32 v[99:100], v[153:154], v[99:100]
	v_add_f64_e32 v[15:16], v[23:24], v[15:16]
	;; [unrolled: 1-line block ×7, first 2 shown]
	v_fma_f64 v[153:154], v[62:63], s[22:23], v[163:164]
	v_fma_f64 v[163:164], v[62:63], s[8:9], v[163:164]
	v_mul_f64_e32 v[66:67], s[38:39], v[66:67]
	v_fma_f64 v[62:63], v[62:63], s[30:31], v[89:90]
	v_add_f64_e32 v[3:4], v[77:78], v[3:4]
	v_add_f64_e32 v[1:2], v[49:50], v[1:2]
	;; [unrolled: 1-line block ×3, first 2 shown]
	v_fma_f64 v[167:168], v[59:60], s[44:45], v[173:174]
	v_fma_f64 v[173:174], v[59:60], s[44:45], -v[173:174]
	v_mul_f64_e32 v[27:28], s[44:45], v[57:58]
	v_fma_f64 v[39:40], v[47:48], s[20:21], v[39:40]
	v_mul_f64_e32 v[25:26], s[30:31], v[53:54]
	v_add_f64_e32 v[33:34], v[33:34], v[37:38]
	v_add_f64_e32 v[37:38], v[91:92], v[41:42]
	;; [unrolled: 1-line block ×8, first 2 shown]
	v_fma_f64 v[105:106], v[59:60], s[40:41], v[209:210]
	v_add_f64_e32 v[97:98], v[113:114], v[97:98]
	v_add_f64_e32 v[87:88], v[115:116], v[87:88]
	v_fma_f64 v[109:110], v[47:48], s[8:9], v[70:71]
	v_fma_f64 v[111:112], v[59:60], s[40:41], -v[209:210]
	v_fma_f64 v[113:114], v[59:60], s[46:47], v[137:138]
	v_add_f64_e32 v[35:36], v[119:120], v[35:36]
	v_fma_f64 v[115:116], v[47:48], s[42:43], v[107:108]
	v_fma_f64 v[119:120], v[59:60], s[46:47], -v[137:138]
	v_add_f64_e32 v[73:74], v[125:126], v[73:74]
	v_mul_f64_e32 v[121:122], s[20:21], v[53:54]
	v_fma_f64 v[107:108], v[47:48], s[36:37], v[107:108]
	v_add_f64_e32 v[15:16], v[15:16], v[19:20]
	v_add_f64_e32 v[13:14], v[13:14], v[17:18]
	;; [unrolled: 1-line block ×4, first 2 shown]
	v_fma_f64 v[21:22], v[59:60], s[28:29], v[51:52]
	v_fma_f64 v[23:24], v[47:48], s[0:1], v[145:146]
	v_fma_f64 v[51:52], v[59:60], s[28:29], -v[51:52]
	v_fma_f64 v[85:86], v[47:48], s[48:49], v[145:146]
	v_add_f64_e32 v[31:32], v[127:128], v[31:32]
	v_fma_f64 v[125:126], v[59:60], s[38:39], v[68:69]
	v_fma_f64 v[59:60], v[59:60], s[38:39], -v[68:69]
	v_mul_f64_e32 v[68:69], s[34:35], v[57:58]
	v_add_f64_e32 v[103:104], v[185:186], v[117:118]
	v_fma_f64 v[70:71], v[47:48], s[22:23], v[70:71]
	v_add_f64_e32 v[29:30], v[83:84], v[29:30]
	v_mul_f64_e32 v[83:84], s[8:9], v[53:54]
	v_mul_f64_e32 v[117:118], s[12:13], v[53:54]
	;; [unrolled: 1-line block ×4, first 2 shown]
	v_fma_f64 v[169:170], v[47:48], s[52:53], v[175:176]
	v_fma_f64 v[175:176], v[47:48], s[30:31], v[175:176]
	v_add_f64_e32 v[131:132], v[153:154], v[141:142]
	v_add_f64_e32 v[99:100], v[163:164], v[99:100]
	;; [unrolled: 1-line block ×4, first 2 shown]
	v_mul_f64_e32 v[53:54], s[0:1], v[53:54]
	v_add_f64_e32 v[1:2], v[62:63], v[1:2]
	v_fma_f64 v[62:63], v[47:48], s[12:13], v[66:67]
	v_mul_f64_e32 v[57:58], s[28:29], v[57:58]
	v_add_f64_e32 v[101:102], v[133:134], v[101:102]
	v_fma_f64 v[47:48], v[47:48], s[50:51], v[66:67]
	v_fma_f64 v[66:67], v[55:56], s[52:53], v[27:28]
	v_add_f64_e32 v[33:34], v[39:40], v[33:34]
	v_fma_f64 v[27:28], v[55:56], s[30:31], v[27:28]
	v_add_f64_e32 v[35:36], v[119:120], v[35:36]
	v_fma_f64 v[133:134], v[45:46], s[44:45], v[25:26]
	v_fma_f64 v[25:26], v[45:46], s[44:45], -v[25:26]
	v_add_f64_e32 v[81:82], v[173:174], v[81:82]
	v_fma_f64 v[129:130], v[45:46], s[46:47], -v[179:180]
	v_fma_f64 v[89:90], v[45:46], s[46:47], v[179:180]
	v_fma_f64 v[64:65], v[55:56], s[42:43], v[211:212]
	v_add_f64_e32 v[135:136], v[15:16], v[7:8]
	v_add_f64_e32 v[21:22], v[21:22], v[37:38]
	v_add_f64_e32 v[37:38], v[23:24], v[41:42]
	v_add_f64_e32 v[39:40], v[51:52], v[43:44]
	v_add_f64_e32 v[41:42], v[85:86], v[49:50]
	v_add_f64_e32 v[43:44], v[105:106], v[77:78]
	v_add_f64_e32 v[49:50], v[109:110], v[91:92]
	v_add_f64_e32 v[51:52], v[111:112], v[93:94]
	v_add_f64_e32 v[105:106], v[107:108], v[31:32]
	v_fma_f64 v[109:110], v[45:46], s[34:35], -v[121:122]
	v_fma_f64 v[111:112], v[55:56], s[20:21], v[68:69]
	v_add_f64_e32 v[70:71], v[70:71], v[17:18]
	v_add_f64_e32 v[77:78], v[113:114], v[19:20]
	;; [unrolled: 1-line block ×3, first 2 shown]
	v_fma_f64 v[29:30], v[45:46], s[40:41], -v[83:84]
	v_fma_f64 v[91:92], v[45:46], s[38:39], -v[117:118]
	v_fma_f64 v[113:114], v[55:56], s[12:13], v[127:128]
	v_fma_f64 v[115:116], v[55:56], s[8:9], v[123:124]
	v_add_f64_e32 v[95:96], v[169:170], v[131:132]
	v_add_f64_e32 v[99:100], v[175:176], v[99:100]
	v_fma_f64 v[131:132], v[55:56], s[36:37], v[211:212]
	v_add_f64_e32 v[75:76], v[167:168], v[75:76]
	v_fma_f64 v[23:24], v[45:46], s[40:41], v[83:84]
	v_fma_f64 v[93:94], v[55:56], s[22:23], v[123:124]
	;; [unrolled: 1-line block ×3, first 2 shown]
	v_fma_f64 v[119:120], v[45:46], s[28:29], -v[53:54]
	v_add_f64_e32 v[59:60], v[59:60], v[3:4]
	v_add_f64_e32 v[62:63], v[62:63], v[1:2]
	v_fma_f64 v[121:122], v[55:56], s[0:1], v[57:58]
	v_add_f64_e32 v[137:138], v[13:14], v[5:6]
	v_fma_f64 v[83:84], v[45:46], s[38:39], v[117:118]
	v_fma_f64 v[117:118], v[55:56], s[50:51], v[127:128]
	;; [unrolled: 1-line block ×3, first 2 shown]
	v_add_f64_e32 v[73:74], v[125:126], v[73:74]
	v_fma_f64 v[53:54], v[45:46], s[28:29], v[53:54]
	v_fma_f64 v[55:56], v[55:56], s[48:49], v[57:58]
	v_add_f64_e32 v[57:58], v[47:48], v[101:102]
	v_add_f64_e32 v[17:18], v[27:28], v[33:34]
	;; [unrolled: 1-line block ×26, first 2 shown]
	v_mul_u32_u24_e32 v53, 0xd00, v72
	v_add_f64_e32 v[49:50], v[55:56], v[57:58]
	v_lshlrev_b32_e32 v54, 4, v80
	s_delay_alu instid0(VALU_DEP_1)
	v_add3_u32 v53, 0, v53, v54
	ds_store_b128 v53, v[33:36] offset:512
	ds_store_b128 v53, v[29:32] offset:768
	ds_store_b128 v53, v[25:28] offset:1024
	ds_store_b128 v53, v[17:20] offset:1280
	ds_store_b128 v53, v[5:8] offset:1536
	ds_store_b128 v53, v[1:4] offset:1792
	ds_store_b128 v53, v[13:16] offset:2048
	ds_store_b128 v53, v[21:24] offset:2304
	ds_store_b128 v53, v[45:48] offset:256
	ds_store_b128 v53, v[9:12]
	ds_store_b128 v53, v[37:40] offset:2560
	ds_store_b128 v53, v[41:44] offset:2816
	;; [unrolled: 1-line block ×3, first 2 shown]
.LBB0_42:
	s_wait_alu 0xfffe
	s_or_b32 exec_lo, exec_lo, s5
	s_or_b32 s0, s3, vcc_lo
	global_wb scope:SCOPE_SE
	s_wait_loadcnt_dscnt 0x0
	s_barrier_signal -1
	s_barrier_wait -1
	global_inv scope:SCOPE_SE
	s_wait_alu 0xfffe
	s_and_saveexec_b32 s1, s0
	s_cbranch_execz .LBB0_44
; %bb.43:
	v_mul_hi_u32 v1, 0x13b13b14, v72
	v_lshlrev_b32_e32 v29, 8, v72
	v_lshlrev_b32_e32 v30, 4, v80
	v_mul_lo_u32 v82, v61, -13
	s_add_co_i32 s0, 0, 0x6800
	s_mov_b32 s9, 0xbfe6a09e
	v_mul_hi_u32 v0, 0x13b13b2, v0
	v_add3_u32 v37, 0, v29, v30
	v_mul_u32_u24_e32 v1, 13, v1
	s_delay_alu instid0(VALU_DEP_1) | instskip(NEXT) | instid1(VALU_DEP_1)
	v_sub_nc_u32_e32 v81, v72, v1
	v_mul_u32_u24_e32 v1, 7, v81
	v_mad_u32_u24 v0, 0x68, v0, v81
	s_delay_alu instid0(VALU_DEP_2)
	v_lshlrev_b32_e32 v21, 4, v1
	s_clause 0x6
	global_load_b128 v[1:4], v21, s[26:27]
	global_load_b128 v[5:8], v21, s[26:27] offset:64
	global_load_b128 v[9:12], v21, s[26:27] offset:32
	;; [unrolled: 1-line block ×6, first 2 shown]
	ds_load_b128 v[29:32], v37 offset:3328
	ds_load_b128 v[33:36], v37 offset:16640
	;; [unrolled: 1-line block ×7, first 2 shown]
	ds_load_b128 v[37:40], v37
	s_wait_loadcnt_dscnt 0x607
	v_mul_f64_e32 v[66:67], v[31:32], v[3:4]
	s_wait_loadcnt_dscnt 0x506
	v_mul_f64_e32 v[68:69], v[35:36], v[7:8]
	;; [unrolled: 2-line block ×7, first 2 shown]
	v_mul_f64_e32 v[64:65], v[57:58], v[27:28]
	v_mul_f64_e32 v[27:28], v[43:44], v[11:12]
	;; [unrolled: 1-line block ×7, first 2 shown]
	v_add_nc_u32_e32 v19, 0x5b, v81
	v_mul_lo_u32 v20, v81, v61
	v_add_nc_u32_e32 v81, 13, v0
	s_delay_alu instid0(VALU_DEP_3) | instskip(NEXT) | instid1(VALU_DEP_3)
	v_mul_lo_u32 v19, v19, v61
	v_lshrrev_b32_e32 v23, 8, v20
	v_and_b32_e32 v24, 63, v20
	v_lshrrev_b32_e32 v20, 2, v20
	s_delay_alu instid0(VALU_DEP_4)
	v_and_b32_e32 v61, 63, v19
	v_lshrrev_b32_e32 v83, 2, v19
	v_add_nc_u32_e32 v84, v19, v82
	v_lshl_add_u32 v85, v24, 4, 0
	v_and_b32_e32 v86, 0x3f0, v20
	v_and_b32_e32 v87, 0x3f0, v23
	v_lshrrev_b32_e32 v88, 8, v19
	v_lshl_add_u32 v89, v61, 4, 0
	v_and_b32_e32 v61, 0x3f0, v83
	v_fma_f64 v[66:67], v[29:30], v[1:2], v[66:67]
	v_fma_f64 v[19:20], v[33:34], v[5:6], v[68:69]
	v_fma_f64 v[68:69], v[43:44], v[9:10], -v[70:71]
	v_fma_f64 v[23:24], v[47:48], v[13:14], -v[72:73]
	v_fma_f64 v[29:30], v[57:58], v[25:26], v[74:75]
	v_fma_f64 v[57:58], v[51:52], v[17:18], -v[76:77]
	v_fma_f64 v[33:34], v[55:56], v[21:22], -v[78:79]
	;; [unrolled: 1-line block ×3, first 2 shown]
	v_fma_f64 v[55:56], v[41:42], v[9:10], v[27:28]
	v_fma_f64 v[27:28], v[45:46], v[13:14], v[62:63]
	;; [unrolled: 1-line block ×4, first 2 shown]
	v_fma_f64 v[53:54], v[31:32], v[1:2], -v[3:4]
	v_fma_f64 v[31:32], v[35:36], v[5:6], -v[7:8]
	s_wait_alu 0xfffe
	v_add_nc_u32_e32 v35, s0, v61
	v_add_nc_u32_e32 v9, v84, v82
	v_lshrrev_b32_e32 v43, 8, v84
	v_lshrrev_b32_e32 v2, 2, v84
	v_and_b32_e32 v1, 63, v84
	v_add_nc_u32_e32 v79, s0, v87
	v_add_nc_u32_e32 v15, v9, v82
	v_lshrrev_b32_e32 v14, 2, v9
	v_and_b32_e32 v13, 63, v9
	v_lshrrev_b32_e32 v9, 8, v9
	v_and_b32_e32 v11, 0x3f0, v43
	v_add_nc_u32_e32 v47, v15, v82
	v_lshrrev_b32_e32 v46, 2, v15
	v_and_b32_e32 v43, 0x3f0, v14
	v_lshrrev_b32_e32 v44, 8, v15
	v_and_b32_e32 v45, 63, v15
	v_add_nc_u32_e32 v65, v47, v82
	v_lshrrev_b32_e32 v52, 2, v47
	v_and_b32_e32 v51, 63, v47
	v_and_b32_e32 v10, 0x3f0, v88
	;; [unrolled: 1-line block ×3, first 2 shown]
	v_add_nc_u32_e32 v76, v65, v82
	v_lshrrev_b32_e32 v83, 8, v65
	v_and_b32_e32 v84, 63, v65
	v_lshrrev_b32_e32 v65, 2, v65
	v_add_f64_e64 v[77:78], v[66:67], -v[19:20]
	v_lshrrev_b32_e32 v87, 2, v76
	v_add_f64_e64 v[61:62], v[68:69], -v[23:24]
	s_wait_dscnt 0x0
	v_add_f64_e64 v[102:103], v[37:38], -v[29:30]
	v_and_b32_e32 v82, 0x3f0, v52
	v_add_f64_e64 v[63:64], v[57:58], -v[33:34]
	v_add_f64_e64 v[104:105], v[39:40], -v[25:26]
	v_and_b32_e32 v49, 0x3f0, v9
	v_add_f64_e64 v[70:71], v[55:56], -v[27:28]
	v_and_b32_e32 v46, 0x3f0, v46
	;; [unrolled: 2-line block ×4, first 2 shown]
	v_and_b32_e32 v87, 0x3f0, v87
	v_lshl_add_u32 v17, v1, 4, 0
	v_lshl_add_u32 v36, v13, 4, 0
	v_add_nc_u32_e32 v41, s0, v43
	v_and_b32_e32 v50, 0x3f0, v44
	v_lshl_add_u32 v45, v45, 4, 0
	v_lshrrev_b32_e32 v47, 8, v47
	v_lshl_add_u32 v75, v51, 4, 0
	v_add_nc_u32_e32 v82, s0, v82
	v_add_nc_u32_e32 v5, s0, v86
	;; [unrolled: 1-line block ×7, first 2 shown]
	ds_load_b128 v[1:4], v85 offset:26624
	ds_load_b128 v[5:8], v5 offset:1024
	;; [unrolled: 1-line block ×10, first 2 shown]
	v_add_nc_u32_e32 v85, s0, v50
	v_and_b32_e32 v86, 0x3f0, v47
	ds_load_b128 v[45:48], v45 offset:26624
	ds_load_b128 v[49:52], v49 offset:1024
	v_fma_f64 v[116:117], v[66:67], 2.0, -v[77:78]
	v_add_nc_u32_e32 v86, s0, v86
	v_add_f64_e32 v[108:109], v[77:78], v[61:62]
	v_fma_f64 v[120:121], v[37:38], 2.0, -v[102:103]
	v_add_f64_e32 v[110:111], v[102:103], v[63:64]
	v_fma_f64 v[112:113], v[39:40], 2.0, -v[104:105]
	v_fma_f64 v[114:115], v[57:58], 2.0, -v[63:64]
	;; [unrolled: 1-line block ×5, first 2 shown]
	v_add_f64_e64 v[128:129], v[104:105], -v[72:73]
	v_fma_f64 v[124:125], v[53:54], 2.0, -v[106:107]
	v_add_f64_e64 v[130:131], v[106:107], -v[70:71]
	v_lshl_add_u32 v57, v84, 4, 0
	v_add_nc_u32_e32 v61, s0, v65
	v_lshl_add_u32 v65, v88, 4, 0
	v_add_nc_u32_e32 v69, s0, v87
	ds_load_b128 v[37:40], v75 offset:26624
	ds_load_b128 v[53:56], v82 offset:1024
	;; [unrolled: 1-line block ×6, first 2 shown]
	s_wait_dscnt 0x10
	v_mul_f64_e32 v[132:133], v[3:4], v[7:8]
	s_wait_dscnt 0xa
	v_mul_f64_e32 v[134:135], v[11:12], v[31:32]
	;; [unrolled: 2-line block ×4, first 2 shown]
	v_mul_f64_e32 v[136:137], v[19:20], v[23:24]
	v_lshrrev_b32_e32 v87, 8, v76
	v_and_b32_e32 v88, 0x3f0, v83
	v_mul_f64_e32 v[7:8], v[1:2], v[7:8]
	v_mul_f64_e32 v[31:32], v[9:10], v[31:32]
	v_mul_f64_e32 v[23:24], v[17:18], v[23:24]
	v_and_b32_e32 v90, 0x3f0, v87
	v_add_nc_u32_e32 v91, s0, v88
	v_mul_f64_e32 v[43:44], v[25:26], v[43:44]
	v_mul_f64_e32 v[51:52], v[45:46], v[51:52]
	ds_load_b128 v[73:76], v74 offset:2048
	ds_load_b128 v[82:85], v85 offset:2048
	v_add_nc_u32_e32 v98, s0, v90
	s_wait_dscnt 0x4
	v_mul_f64_e32 v[144:145], v[59:60], v[63:64]
	v_mul_f64_e32 v[142:143], v[39:40], v[55:56]
	s_wait_dscnt 0x2
	v_mul_f64_e32 v[146:147], v[67:68], v[71:72]
	s_mov_b32 s0, 0x667f3bcd
	v_fma_f64 v[77:78], v[77:78], 2.0, -v[108:109]
	s_mov_b32 s1, 0x3fe6a09e
	v_fma_f64 v[102:103], v[102:103], 2.0, -v[110:111]
	s_wait_alu 0xfffe
	s_mov_b32 s8, s0
	v_add_f64_e64 v[114:115], v[112:113], -v[114:115]
	v_add_f64_e64 v[118:119], v[116:117], -v[118:119]
	v_mul_f64_e32 v[55:56], v[37:38], v[55:56]
	v_add_f64_e64 v[122:123], v[120:121], -v[122:123]
	v_fma_f64 v[104:105], v[104:105], 2.0, -v[128:129]
	v_add_f64_e64 v[126:127], v[124:125], -v[126:127]
	v_fma_f64 v[106:107], v[106:107], 2.0, -v[130:131]
	v_mul_f64_e32 v[63:64], v[57:58], v[63:64]
	v_mul_f64_e32 v[71:72], v[65:66], v[71:72]
	ds_load_b128 v[86:89], v86 offset:2048
	ds_load_b128 v[90:93], v91 offset:2048
	;; [unrolled: 1-line block ×4, first 2 shown]
	v_mul_lo_u32 v79, s16, v0
	v_fma_f64 v[1:2], v[1:2], v[5:6], -v[132:133]
	v_fma_f64 v[9:10], v[9:10], v[29:30], -v[134:135]
	;; [unrolled: 1-line block ×5, first 2 shown]
	v_fma_f64 v[132:133], v[108:109], s[0:1], v[110:111]
	v_fma_f64 v[138:139], v[130:131], s[0:1], v[128:129]
	;; [unrolled: 1-line block ×7, first 2 shown]
	v_fma_f64 v[57:58], v[57:58], v[61:62], -v[144:145]
	v_fma_f64 v[37:38], v[37:38], v[53:54], -v[142:143]
	;; [unrolled: 1-line block ×3, first 2 shown]
	s_wait_alu 0xfffe
	v_fma_f64 v[134:135], v[77:78], s[8:9], v[102:103]
	v_fma_f64 v[112:113], v[112:113], 2.0, -v[114:115]
	v_fma_f64 v[116:117], v[116:117], 2.0, -v[118:119]
	v_fma_f64 v[21:22], v[39:40], v[53:54], v[55:56]
	v_fma_f64 v[120:121], v[120:121], 2.0, -v[122:123]
	v_fma_f64 v[124:125], v[124:125], 2.0, -v[126:127]
	v_fma_f64 v[136:137], v[106:107], s[8:9], v[104:105]
	v_fma_f64 v[23:24], v[59:60], v[61:62], v[63:64]
	v_fma_f64 v[27:28], v[67:68], v[69:70], v[71:72]
	v_add_f64_e32 v[55:56], v[122:123], v[126:127]
	v_add_f64_e64 v[69:70], v[114:115], -v[118:119]
	s_wait_dscnt 0x1
	v_mul_f64_e32 v[29:30], v[96:97], v[1:2]
	v_mul_f64_e32 v[31:32], v[9:10], v[15:16]
	;; [unrolled: 1-line block ×5, first 2 shown]
	v_fma_f64 v[53:54], v[130:131], s[0:1], v[132:133]
	v_fma_f64 v[71:72], v[108:109], s[8:9], v[138:139]
	v_mul_f64_e32 v[15:16], v[5:6], v[15:16]
	v_mul_f64_e32 v[35:36], v[7:8], v[35:36]
	;; [unrolled: 1-line block ×6, first 2 shown]
	s_wait_dscnt 0x0
	v_mul_f64_e32 v[51:52], v[65:66], v[100:101]
	v_fma_f64 v[59:60], v[106:107], s[0:1], v[134:135]
	s_add_nc_u64 s[0:1], s[24:25], s[6:7]
	v_mul_lo_u32 v106, s16, v81
	s_load_b64 s[0:1], s[0:1], 0x0
	v_mul_f64_e32 v[88:89], v[21:22], v[88:89]
	v_add_f64_e64 v[61:62], v[120:121], -v[116:117]
	v_mul_lo_u32 v107, s18, v80
	v_add_f64_e64 v[63:64], v[112:113], -v[124:125]
	v_fma_f64 v[67:68], v[77:78], s[8:9], v[136:137]
	v_mul_f64_e32 v[77:78], v[96:97], v[3:4]
	v_mul_f64_e32 v[92:93], v[23:24], v[92:93]
	;; [unrolled: 1-line block ×3, first 2 shown]
	v_add_nc_u32_e32 v100, 26, v0
	v_dual_mov_b32 v80, 0 :: v_dual_add_nc_u32 v101, 39, v0
	v_fma_f64 v[3:4], v[94:95], v[3:4], v[29:30]
	v_fma_f64 v[5:6], v[13:14], v[5:6], v[31:32]
	;; [unrolled: 1-line block ×4, first 2 shown]
	v_fma_f64 v[41:42], v[122:123], 2.0, -v[55:56]
	v_fma_f64 v[7:8], v[33:34], v[7:8], v[39:40]
	v_fma_f64 v[39:40], v[110:111], 2.0, -v[53:54]
	s_wait_kmcnt 0x0
	s_mul_i32 s0, s0, s4
	v_fma_f64 v[33:34], v[33:34], v[17:18], -v[35:36]
	s_wait_alu 0xfffe
	s_add_co_i32 s0, s0, s2
	v_fma_f64 v[35:36], v[73:74], v[25:26], -v[75:76]
	v_fma_f64 v[45:46], v[82:83], v[45:46], -v[84:85]
	s_wait_alu 0xfffe
	v_add3_u32 v79, v107, v79, s0
	v_fma_f64 v[23:24], v[90:91], v[23:24], v[49:50]
	v_fma_f64 v[21:22], v[86:87], v[21:22], v[47:48]
	;; [unrolled: 1-line block ×3, first 2 shown]
	v_fma_f64 v[49:50], v[114:115], 2.0, -v[69:70]
	v_fma_f64 v[51:52], v[128:129], 2.0, -v[71:72]
	;; [unrolled: 1-line block ×3, first 2 shown]
	v_add_nc_u32_e32 v102, 52, v0
	v_add_nc_u32_e32 v103, 0x41, v0
	v_fma_f64 v[47:48], v[120:121], 2.0, -v[61:62]
	v_fma_f64 v[29:30], v[112:113], 2.0, -v[63:64]
	;; [unrolled: 1-line block ×3, first 2 shown]
	v_add_nc_u32_e32 v104, 0x4e, v0
	v_add_nc_u32_e32 v105, 0x5b, v0
	v_fma_f64 v[77:78], v[94:95], v[1:2], -v[77:78]
	v_fma_f64 v[0:1], v[13:14], v[9:10], -v[15:16]
	v_fma_f64 v[16:17], v[86:87], v[37:38], -v[88:89]
	v_fma_f64 v[37:38], v[90:91], v[57:58], -v[92:93]
	v_fma_f64 v[57:58], v[98:99], v[65:66], -v[96:97]
	v_mul_f64_e32 v[9:10], v[53:54], v[5:6]
	v_mul_f64_e32 v[25:26], v[59:60], v[11:12]
	;; [unrolled: 1-line block ×8, first 2 shown]
	v_mul_lo_u32 v11, s16, v101
	v_mul_lo_u32 v12, s16, v102
	;; [unrolled: 1-line block ×5, first 2 shown]
	v_mul_f64_e32 v[75:76], v[41:42], v[23:24]
	v_mul_f64_e32 v[73:74], v[39:40], v[21:22]
	;; [unrolled: 1-line block ×8, first 2 shown]
	v_mul_lo_u32 v4, s16, v100
	v_lshlrev_b64_e32 v[2:3], 4, v[79:80]
	v_add3_u32 v79, v107, v106, s0
	s_delay_alu instid0(VALU_DEP_1) | instskip(NEXT) | instid1(VALU_DEP_4)
	v_lshlrev_b64_e32 v[7:8], 4, v[79:80]
	v_add3_u32 v79, v107, v4, s0
	s_delay_alu instid0(VALU_DEP_4) | instskip(SKIP_2) | instid1(VALU_DEP_3)
	v_add_co_u32 v99, vcc_lo, s14, v2
	s_wait_alu 0xfffd
	v_add_co_ci_u32_e32 v100, vcc_lo, s15, v3, vcc_lo
	v_lshlrev_b64_e32 v[101:102], 4, v[79:80]
	v_add3_u32 v79, v107, v11, s0
	v_fma_f64 v[2:3], v[71:72], v[0:1], -v[9:10]
	v_fma_f64 v[10:11], v[67:68], v[35:36], -v[25:26]
	v_add_co_u32 v103, vcc_lo, s14, v7
	s_delay_alu instid0(VALU_DEP_4)
	v_lshlrev_b64_e32 v[105:106], 4, v[79:80]
	v_add3_u32 v79, v107, v12, s0
	v_fma_f64 v[0:1], v[53:54], v[0:1], v[5:6]
	v_fma_f64 v[6:7], v[69:70], v[33:34], -v[13:14]
	v_fma_f64 v[22:23], v[49:50], v[37:38], -v[75:76]
	;; [unrolled: 1-line block ×4, first 2 shown]
	v_fma_f64 v[20:21], v[41:42], v[37:38], v[89:90]
	v_fma_f64 v[16:17], v[39:40], v[16:17], v[91:92]
	;; [unrolled: 1-line block ×3, first 2 shown]
	v_fma_f64 v[26:27], v[57:58], v[31:32], -v[81:82]
	s_wait_alu 0xfffd
	v_add_co_ci_u32_e32 v104, vcc_lo, s15, v8, vcc_lo
	v_fma_f64 v[8:9], v[59:60], v[35:36], v[95:96]
	v_fma_f64 v[4:5], v[55:56], v[33:34], v[97:98]
	v_fma_f64 v[30:31], v[29:30], v[77:78], -v[83:84]
	v_lshlrev_b64_e32 v[34:35], 4, v[79:80]
	v_fma_f64 v[28:29], v[47:48], v[77:78], v[85:86]
	v_fma_f64 v[24:25], v[57:58], v[43:44], v[87:88]
	v_add3_u32 v79, v107, v108, s0
	v_add_co_u32 v32, vcc_lo, s14, v101
	s_wait_alu 0xfffd
	v_add_co_ci_u32_e32 v33, vcc_lo, s15, v102, vcc_lo
	s_delay_alu instid0(VALU_DEP_3) | instskip(SKIP_4) | instid1(VALU_DEP_3)
	v_lshlrev_b64_e32 v[38:39], 4, v[79:80]
	v_add3_u32 v79, v107, v109, s0
	v_add_co_u32 v36, vcc_lo, s14, v105
	s_wait_alu 0xfffd
	v_add_co_ci_u32_e32 v37, vcc_lo, s15, v106, vcc_lo
	v_lshlrev_b64_e32 v[40:41], 4, v[79:80]
	v_add3_u32 v79, v107, v110, s0
	v_add_co_u32 v34, vcc_lo, s14, v34
	s_wait_alu 0xfffd
	v_add_co_ci_u32_e32 v35, vcc_lo, s15, v35, vcc_lo
	v_add_co_u32 v38, vcc_lo, s14, v38
	v_lshlrev_b64_e32 v[42:43], 4, v[79:80]
	s_wait_alu 0xfffd
	v_add_co_ci_u32_e32 v39, vcc_lo, s15, v39, vcc_lo
	v_add_co_u32 v40, vcc_lo, s14, v40
	s_wait_alu 0xfffd
	v_add_co_ci_u32_e32 v41, vcc_lo, s15, v41, vcc_lo
	v_add_co_u32 v42, vcc_lo, s14, v42
	s_wait_alu 0xfffd
	v_add_co_ci_u32_e32 v43, vcc_lo, s15, v43, vcc_lo
	s_clause 0x7
	global_store_b128 v[99:100], v[28:31], off
	global_store_b128 v[103:104], v[24:27], off
	;; [unrolled: 1-line block ×8, first 2 shown]
.LBB0_44:
	s_nop 0
	s_sendmsg sendmsg(MSG_DEALLOC_VGPRS)
	s_endpgm
	.section	.rodata,"a",@progbits
	.p2align	6, 0x0
	.amdhsa_kernel fft_rtc_back_len104_factors_13_8_wgs_208_tpt_13_dp_op_CI_CI_sbcc_twdbase6_3step_dirReg_intrinsicReadWrite
		.amdhsa_group_segment_fixed_size 0
		.amdhsa_private_segment_fixed_size 0
		.amdhsa_kernarg_size 112
		.amdhsa_user_sgpr_count 2
		.amdhsa_user_sgpr_dispatch_ptr 0
		.amdhsa_user_sgpr_queue_ptr 0
		.amdhsa_user_sgpr_kernarg_segment_ptr 1
		.amdhsa_user_sgpr_dispatch_id 0
		.amdhsa_user_sgpr_private_segment_size 0
		.amdhsa_wavefront_size32 1
		.amdhsa_uses_dynamic_stack 0
		.amdhsa_enable_private_segment 0
		.amdhsa_system_sgpr_workgroup_id_x 1
		.amdhsa_system_sgpr_workgroup_id_y 0
		.amdhsa_system_sgpr_workgroup_id_z 0
		.amdhsa_system_sgpr_workgroup_info 0
		.amdhsa_system_vgpr_workitem_id 0
		.amdhsa_next_free_vgpr 215
		.amdhsa_next_free_sgpr 60
		.amdhsa_reserve_vcc 1
		.amdhsa_float_round_mode_32 0
		.amdhsa_float_round_mode_16_64 0
		.amdhsa_float_denorm_mode_32 3
		.amdhsa_float_denorm_mode_16_64 3
		.amdhsa_fp16_overflow 0
		.amdhsa_workgroup_processor_mode 1
		.amdhsa_memory_ordered 1
		.amdhsa_forward_progress 0
		.amdhsa_round_robin_scheduling 0
		.amdhsa_exception_fp_ieee_invalid_op 0
		.amdhsa_exception_fp_denorm_src 0
		.amdhsa_exception_fp_ieee_div_zero 0
		.amdhsa_exception_fp_ieee_overflow 0
		.amdhsa_exception_fp_ieee_underflow 0
		.amdhsa_exception_fp_ieee_inexact 0
		.amdhsa_exception_int_div_zero 0
	.end_amdhsa_kernel
	.text
.Lfunc_end0:
	.size	fft_rtc_back_len104_factors_13_8_wgs_208_tpt_13_dp_op_CI_CI_sbcc_twdbase6_3step_dirReg_intrinsicReadWrite, .Lfunc_end0-fft_rtc_back_len104_factors_13_8_wgs_208_tpt_13_dp_op_CI_CI_sbcc_twdbase6_3step_dirReg_intrinsicReadWrite
                                        ; -- End function
	.section	.AMDGPU.csdata,"",@progbits
; Kernel info:
; codeLenInByte = 8204
; NumSgprs: 62
; NumVgprs: 215
; ScratchSize: 0
; MemoryBound: 0
; FloatMode: 240
; IeeeMode: 1
; LDSByteSize: 0 bytes/workgroup (compile time only)
; SGPRBlocks: 7
; VGPRBlocks: 26
; NumSGPRsForWavesPerEU: 62
; NumVGPRsForWavesPerEU: 215
; Occupancy: 7
; WaveLimiterHint : 1
; COMPUTE_PGM_RSRC2:SCRATCH_EN: 0
; COMPUTE_PGM_RSRC2:USER_SGPR: 2
; COMPUTE_PGM_RSRC2:TRAP_HANDLER: 0
; COMPUTE_PGM_RSRC2:TGID_X_EN: 1
; COMPUTE_PGM_RSRC2:TGID_Y_EN: 0
; COMPUTE_PGM_RSRC2:TGID_Z_EN: 0
; COMPUTE_PGM_RSRC2:TIDIG_COMP_CNT: 0
	.text
	.p2alignl 7, 3214868480
	.fill 96, 4, 3214868480
	.type	__hip_cuid_94826100d307d98d,@object ; @__hip_cuid_94826100d307d98d
	.section	.bss,"aw",@nobits
	.globl	__hip_cuid_94826100d307d98d
__hip_cuid_94826100d307d98d:
	.byte	0                               ; 0x0
	.size	__hip_cuid_94826100d307d98d, 1

	.ident	"AMD clang version 19.0.0git (https://github.com/RadeonOpenCompute/llvm-project roc-6.4.0 25133 c7fe45cf4b819c5991fe208aaa96edf142730f1d)"
	.section	".note.GNU-stack","",@progbits
	.addrsig
	.addrsig_sym __hip_cuid_94826100d307d98d
	.amdgpu_metadata
---
amdhsa.kernels:
  - .args:
      - .actual_access:  read_only
        .address_space:  global
        .offset:         0
        .size:           8
        .value_kind:     global_buffer
      - .address_space:  global
        .offset:         8
        .size:           8
        .value_kind:     global_buffer
      - .offset:         16
        .size:           8
        .value_kind:     by_value
      - .actual_access:  read_only
        .address_space:  global
        .offset:         24
        .size:           8
        .value_kind:     global_buffer
      - .actual_access:  read_only
        .address_space:  global
        .offset:         32
        .size:           8
        .value_kind:     global_buffer
      - .actual_access:  read_only
        .address_space:  global
        .offset:         40
        .size:           8
        .value_kind:     global_buffer
      - .offset:         48
        .size:           8
        .value_kind:     by_value
      - .actual_access:  read_only
        .address_space:  global
        .offset:         56
        .size:           8
        .value_kind:     global_buffer
      - .actual_access:  read_only
        .address_space:  global
        .offset:         64
        .size:           8
        .value_kind:     global_buffer
      - .offset:         72
        .size:           4
        .value_kind:     by_value
      - .actual_access:  read_only
        .address_space:  global
        .offset:         80
        .size:           8
        .value_kind:     global_buffer
      - .actual_access:  read_only
        .address_space:  global
        .offset:         88
        .size:           8
        .value_kind:     global_buffer
      - .actual_access:  read_only
        .address_space:  global
        .offset:         96
        .size:           8
        .value_kind:     global_buffer
      - .actual_access:  write_only
        .address_space:  global
        .offset:         104
        .size:           8
        .value_kind:     global_buffer
    .group_segment_fixed_size: 0
    .kernarg_segment_align: 8
    .kernarg_segment_size: 112
    .language:       OpenCL C
    .language_version:
      - 2
      - 0
    .max_flat_workgroup_size: 208
    .name:           fft_rtc_back_len104_factors_13_8_wgs_208_tpt_13_dp_op_CI_CI_sbcc_twdbase6_3step_dirReg_intrinsicReadWrite
    .private_segment_fixed_size: 0
    .sgpr_count:     62
    .sgpr_spill_count: 0
    .symbol:         fft_rtc_back_len104_factors_13_8_wgs_208_tpt_13_dp_op_CI_CI_sbcc_twdbase6_3step_dirReg_intrinsicReadWrite.kd
    .uniform_work_group_size: 1
    .uses_dynamic_stack: false
    .vgpr_count:     215
    .vgpr_spill_count: 0
    .wavefront_size: 32
    .workgroup_processor_mode: 1
amdhsa.target:   amdgcn-amd-amdhsa--gfx1201
amdhsa.version:
  - 1
  - 2
...

	.end_amdgpu_metadata
